;; amdgpu-corpus repo=ROCm/rocFFT kind=compiled arch=gfx906 opt=O3
	.text
	.amdgcn_target "amdgcn-amd-amdhsa--gfx906"
	.amdhsa_code_object_version 6
	.protected	fft_rtc_back_len918_factors_17_9_2_3_wgs_102_tpt_102_halfLds_sp_ip_CI_sbrr_dirReg ; -- Begin function fft_rtc_back_len918_factors_17_9_2_3_wgs_102_tpt_102_halfLds_sp_ip_CI_sbrr_dirReg
	.globl	fft_rtc_back_len918_factors_17_9_2_3_wgs_102_tpt_102_halfLds_sp_ip_CI_sbrr_dirReg
	.p2align	8
	.type	fft_rtc_back_len918_factors_17_9_2_3_wgs_102_tpt_102_halfLds_sp_ip_CI_sbrr_dirReg,@function
fft_rtc_back_len918_factors_17_9_2_3_wgs_102_tpt_102_halfLds_sp_ip_CI_sbrr_dirReg: ; @fft_rtc_back_len918_factors_17_9_2_3_wgs_102_tpt_102_halfLds_sp_ip_CI_sbrr_dirReg
; %bb.0:
	s_load_dwordx2 s[2:3], s[4:5], 0x18
	s_load_dwordx4 s[8:11], s[4:5], 0x0
	s_load_dwordx2 s[14:15], s[4:5], 0x50
	v_mul_u32_u24_e32 v1, 0x283, v0
	v_add_u32_sdwa v5, s6, v1 dst_sel:DWORD dst_unused:UNUSED_PAD src0_sel:DWORD src1_sel:WORD_1
	s_waitcnt lgkmcnt(0)
	s_load_dwordx2 s[12:13], s[2:3], 0x0
	v_cmp_lt_u64_e64 s[0:1], s[10:11], 2
	v_mov_b32_e32 v3, 0
	v_mov_b32_e32 v1, 0
	;; [unrolled: 1-line block ×3, first 2 shown]
	s_and_b64 vcc, exec, s[0:1]
	v_mov_b32_e32 v2, 0
	s_cbranch_vccnz .LBB0_8
; %bb.1:
	s_load_dwordx2 s[0:1], s[4:5], 0x10
	s_add_u32 s6, s2, 8
	s_addc_u32 s7, s3, 0
	v_mov_b32_e32 v1, 0
	v_mov_b32_e32 v2, 0
	s_waitcnt lgkmcnt(0)
	s_add_u32 s16, s0, 8
	s_addc_u32 s17, s1, 0
	s_mov_b64 s[18:19], 1
.LBB0_2:                                ; =>This Inner Loop Header: Depth=1
	s_load_dwordx2 s[20:21], s[16:17], 0x0
                                        ; implicit-def: $vgpr7_vgpr8
	s_waitcnt lgkmcnt(0)
	v_or_b32_e32 v4, s21, v6
	v_cmp_ne_u64_e32 vcc, 0, v[3:4]
	s_and_saveexec_b64 s[0:1], vcc
	s_xor_b64 s[22:23], exec, s[0:1]
	s_cbranch_execz .LBB0_4
; %bb.3:                                ;   in Loop: Header=BB0_2 Depth=1
	v_cvt_f32_u32_e32 v4, s20
	v_cvt_f32_u32_e32 v7, s21
	s_sub_u32 s0, 0, s20
	s_subb_u32 s1, 0, s21
	v_mac_f32_e32 v4, 0x4f800000, v7
	v_rcp_f32_e32 v4, v4
	v_mul_f32_e32 v4, 0x5f7ffffc, v4
	v_mul_f32_e32 v7, 0x2f800000, v4
	v_trunc_f32_e32 v7, v7
	v_mac_f32_e32 v4, 0xcf800000, v7
	v_cvt_u32_f32_e32 v7, v7
	v_cvt_u32_f32_e32 v4, v4
	v_mul_lo_u32 v8, s0, v7
	v_mul_hi_u32 v9, s0, v4
	v_mul_lo_u32 v11, s1, v4
	v_mul_lo_u32 v10, s0, v4
	v_add_u32_e32 v8, v9, v8
	v_add_u32_e32 v8, v8, v11
	v_mul_hi_u32 v9, v4, v10
	v_mul_lo_u32 v11, v4, v8
	v_mul_hi_u32 v13, v4, v8
	v_mul_hi_u32 v12, v7, v10
	v_mul_lo_u32 v10, v7, v10
	v_mul_hi_u32 v14, v7, v8
	v_add_co_u32_e32 v9, vcc, v9, v11
	v_addc_co_u32_e32 v11, vcc, 0, v13, vcc
	v_mul_lo_u32 v8, v7, v8
	v_add_co_u32_e32 v9, vcc, v9, v10
	v_addc_co_u32_e32 v9, vcc, v11, v12, vcc
	v_addc_co_u32_e32 v10, vcc, 0, v14, vcc
	v_add_co_u32_e32 v8, vcc, v9, v8
	v_addc_co_u32_e32 v9, vcc, 0, v10, vcc
	v_add_co_u32_e32 v4, vcc, v4, v8
	v_addc_co_u32_e32 v7, vcc, v7, v9, vcc
	v_mul_lo_u32 v8, s0, v7
	v_mul_hi_u32 v9, s0, v4
	v_mul_lo_u32 v10, s1, v4
	v_mul_lo_u32 v11, s0, v4
	v_add_u32_e32 v8, v9, v8
	v_add_u32_e32 v8, v8, v10
	v_mul_lo_u32 v12, v4, v8
	v_mul_hi_u32 v13, v4, v11
	v_mul_hi_u32 v14, v4, v8
	;; [unrolled: 1-line block ×3, first 2 shown]
	v_mul_lo_u32 v11, v7, v11
	v_mul_hi_u32 v9, v7, v8
	v_add_co_u32_e32 v12, vcc, v13, v12
	v_addc_co_u32_e32 v13, vcc, 0, v14, vcc
	v_mul_lo_u32 v8, v7, v8
	v_add_co_u32_e32 v11, vcc, v12, v11
	v_addc_co_u32_e32 v10, vcc, v13, v10, vcc
	v_addc_co_u32_e32 v9, vcc, 0, v9, vcc
	v_add_co_u32_e32 v8, vcc, v10, v8
	v_addc_co_u32_e32 v9, vcc, 0, v9, vcc
	v_add_co_u32_e32 v4, vcc, v4, v8
	v_addc_co_u32_e32 v9, vcc, v7, v9, vcc
	v_mad_u64_u32 v[7:8], s[0:1], v5, v9, 0
	v_mul_hi_u32 v10, v5, v4
	v_add_co_u32_e32 v11, vcc, v10, v7
	v_addc_co_u32_e32 v12, vcc, 0, v8, vcc
	v_mad_u64_u32 v[7:8], s[0:1], v6, v4, 0
	v_mad_u64_u32 v[9:10], s[0:1], v6, v9, 0
	v_add_co_u32_e32 v4, vcc, v11, v7
	v_addc_co_u32_e32 v4, vcc, v12, v8, vcc
	v_addc_co_u32_e32 v7, vcc, 0, v10, vcc
	v_add_co_u32_e32 v4, vcc, v4, v9
	v_addc_co_u32_e32 v9, vcc, 0, v7, vcc
	v_mul_lo_u32 v10, s21, v4
	v_mul_lo_u32 v11, s20, v9
	v_mad_u64_u32 v[7:8], s[0:1], s20, v4, 0
	v_add3_u32 v8, v8, v11, v10
	v_sub_u32_e32 v10, v6, v8
	v_mov_b32_e32 v11, s21
	v_sub_co_u32_e32 v7, vcc, v5, v7
	v_subb_co_u32_e64 v10, s[0:1], v10, v11, vcc
	v_subrev_co_u32_e64 v11, s[0:1], s20, v7
	v_subbrev_co_u32_e64 v10, s[0:1], 0, v10, s[0:1]
	v_cmp_le_u32_e64 s[0:1], s21, v10
	v_cndmask_b32_e64 v12, 0, -1, s[0:1]
	v_cmp_le_u32_e64 s[0:1], s20, v11
	v_cndmask_b32_e64 v11, 0, -1, s[0:1]
	v_cmp_eq_u32_e64 s[0:1], s21, v10
	v_cndmask_b32_e64 v10, v12, v11, s[0:1]
	v_add_co_u32_e64 v11, s[0:1], 2, v4
	v_addc_co_u32_e64 v12, s[0:1], 0, v9, s[0:1]
	v_add_co_u32_e64 v13, s[0:1], 1, v4
	v_addc_co_u32_e64 v14, s[0:1], 0, v9, s[0:1]
	v_subb_co_u32_e32 v8, vcc, v6, v8, vcc
	v_cmp_ne_u32_e64 s[0:1], 0, v10
	v_cmp_le_u32_e32 vcc, s21, v8
	v_cndmask_b32_e64 v10, v14, v12, s[0:1]
	v_cndmask_b32_e64 v12, 0, -1, vcc
	v_cmp_le_u32_e32 vcc, s20, v7
	v_cndmask_b32_e64 v7, 0, -1, vcc
	v_cmp_eq_u32_e32 vcc, s21, v8
	v_cndmask_b32_e32 v7, v12, v7, vcc
	v_cmp_ne_u32_e32 vcc, 0, v7
	v_cndmask_b32_e64 v7, v13, v11, s[0:1]
	v_cndmask_b32_e32 v8, v9, v10, vcc
	v_cndmask_b32_e32 v7, v4, v7, vcc
.LBB0_4:                                ;   in Loop: Header=BB0_2 Depth=1
	s_andn2_saveexec_b64 s[0:1], s[22:23]
	s_cbranch_execz .LBB0_6
; %bb.5:                                ;   in Loop: Header=BB0_2 Depth=1
	v_cvt_f32_u32_e32 v4, s20
	s_sub_i32 s22, 0, s20
	v_rcp_iflag_f32_e32 v4, v4
	v_mul_f32_e32 v4, 0x4f7ffffe, v4
	v_cvt_u32_f32_e32 v4, v4
	v_mul_lo_u32 v7, s22, v4
	v_mul_hi_u32 v7, v4, v7
	v_add_u32_e32 v4, v4, v7
	v_mul_hi_u32 v4, v5, v4
	v_mul_lo_u32 v7, v4, s20
	v_add_u32_e32 v8, 1, v4
	v_sub_u32_e32 v7, v5, v7
	v_subrev_u32_e32 v9, s20, v7
	v_cmp_le_u32_e32 vcc, s20, v7
	v_cndmask_b32_e32 v7, v7, v9, vcc
	v_cndmask_b32_e32 v4, v4, v8, vcc
	v_add_u32_e32 v8, 1, v4
	v_cmp_le_u32_e32 vcc, s20, v7
	v_cndmask_b32_e32 v7, v4, v8, vcc
	v_mov_b32_e32 v8, v3
.LBB0_6:                                ;   in Loop: Header=BB0_2 Depth=1
	s_or_b64 exec, exec, s[0:1]
	v_mul_lo_u32 v4, v8, s20
	v_mul_lo_u32 v11, v7, s21
	v_mad_u64_u32 v[9:10], s[0:1], v7, s20, 0
	s_load_dwordx2 s[0:1], s[6:7], 0x0
	s_add_u32 s18, s18, 1
	v_add3_u32 v4, v10, v11, v4
	v_sub_co_u32_e32 v5, vcc, v5, v9
	v_subb_co_u32_e32 v4, vcc, v6, v4, vcc
	s_waitcnt lgkmcnt(0)
	v_mul_lo_u32 v4, s0, v4
	v_mul_lo_u32 v6, s1, v5
	v_mad_u64_u32 v[1:2], s[0:1], s0, v5, v[1:2]
	s_addc_u32 s19, s19, 0
	s_add_u32 s6, s6, 8
	v_add3_u32 v2, v6, v2, v4
	v_mov_b32_e32 v4, s10
	v_mov_b32_e32 v5, s11
	s_addc_u32 s7, s7, 0
	v_cmp_ge_u64_e32 vcc, s[18:19], v[4:5]
	s_add_u32 s16, s16, 8
	s_addc_u32 s17, s17, 0
	s_cbranch_vccnz .LBB0_9
; %bb.7:                                ;   in Loop: Header=BB0_2 Depth=1
	v_mov_b32_e32 v5, v7
	v_mov_b32_e32 v6, v8
	s_branch .LBB0_2
.LBB0_8:
	v_mov_b32_e32 v8, v6
	v_mov_b32_e32 v7, v5
.LBB0_9:
	s_lshl_b64 s[0:1], s[10:11], 3
	s_add_u32 s0, s2, s0
	s_addc_u32 s1, s3, s1
	s_load_dwordx2 s[2:3], s[0:1], 0x0
	s_load_dwordx2 s[6:7], s[4:5], 0x20
                                        ; implicit-def: $vgpr9
                                        ; implicit-def: $vgpr11
                                        ; implicit-def: $vgpr13
                                        ; implicit-def: $vgpr15
                                        ; implicit-def: $vgpr17
                                        ; implicit-def: $vgpr19
                                        ; implicit-def: $vgpr21
                                        ; implicit-def: $vgpr37
                                        ; implicit-def: $vgpr35
                                        ; implicit-def: $vgpr23
                                        ; implicit-def: $vgpr25
                                        ; implicit-def: $vgpr27
                                        ; implicit-def: $vgpr29
                                        ; implicit-def: $vgpr31
                                        ; implicit-def: $vgpr33
	s_waitcnt lgkmcnt(0)
	v_mad_u64_u32 v[1:2], s[0:1], s2, v7, v[1:2]
	s_mov_b32 s0, 0x2828283
	v_mul_lo_u32 v3, s2, v8
	v_mul_lo_u32 v4, s3, v7
	v_mul_hi_u32 v5, v0, s0
	v_cmp_gt_u64_e32 vcc, s[6:7], v[7:8]
                                        ; implicit-def: $vgpr7
	v_add3_u32 v2, v4, v2, v3
	v_mul_u32_u24_e32 v3, 0x66, v5
	v_sub_u32_e32 v0, v0, v3
	v_cmp_gt_u32_e64 s[0:1], 54, v0
	v_lshlrev_b64 v[2:3], 3, v[1:2]
	s_and_b64 s[2:3], vcc, s[0:1]
	v_mov_b32_e32 v5, 0
	v_mov_b32_e32 v4, 0
	s_and_saveexec_b64 s[4:5], s[2:3]
	s_cbranch_execz .LBB0_11
; %bb.10:
	v_mad_u64_u32 v[4:5], s[2:3], s12, v0, 0
	v_add_u32_e32 v9, 54, v0
	v_mov_b32_e32 v8, s15
	v_mov_b32_e32 v1, v5
	v_mad_u64_u32 v[5:6], s[2:3], s13, v0, v[1:2]
	v_mad_u64_u32 v[6:7], s[2:3], s12, v9, 0
	v_add_co_u32_e64 v12, s[2:3], s14, v2
	v_mov_b32_e32 v1, v7
	v_addc_co_u32_e64 v13, s[2:3], v8, v3, s[2:3]
	v_mad_u64_u32 v[7:8], s[2:3], s13, v9, v[1:2]
	v_add_u32_e32 v10, 0x6c, v0
	v_mad_u64_u32 v[8:9], s[2:3], s12, v10, 0
	v_lshlrev_b64 v[4:5], 3, v[4:5]
	v_add_co_u32_e64 v34, s[2:3], v12, v4
	v_mov_b32_e32 v1, v9
	v_addc_co_u32_e64 v35, s[2:3], v13, v5, s[2:3]
	v_lshlrev_b64 v[4:5], 3, v[6:7]
	v_mad_u64_u32 v[6:7], s[2:3], s13, v10, v[1:2]
	v_add_u32_e32 v7, 0xa2, v0
	v_mad_u64_u32 v[10:11], s[2:3], s12, v7, 0
	v_add_co_u32_e64 v36, s[2:3], v12, v4
	v_mov_b32_e32 v9, v6
	v_mov_b32_e32 v1, v11
	v_addc_co_u32_e64 v37, s[2:3], v13, v5, s[2:3]
	v_lshlrev_b64 v[4:5], 3, v[8:9]
	v_mad_u64_u32 v[6:7], s[2:3], s13, v7, v[1:2]
	v_add_u32_e32 v9, 0xd8, v0
	v_mad_u64_u32 v[7:8], s[2:3], s12, v9, 0
	v_add_co_u32_e64 v38, s[2:3], v12, v4
	v_mov_b32_e32 v1, v8
	v_addc_co_u32_e64 v39, s[2:3], v13, v5, s[2:3]
	v_mov_b32_e32 v11, v6
	v_mad_u64_u32 v[8:9], s[2:3], s13, v9, v[1:2]
	v_add_u32_e32 v6, 0x10e, v0
	v_lshlrev_b64 v[4:5], 3, v[10:11]
	v_mad_u64_u32 v[9:10], s[2:3], s12, v6, 0
	v_add_co_u32_e64 v40, s[2:3], v12, v4
	v_mov_b32_e32 v1, v10
	v_addc_co_u32_e64 v41, s[2:3], v13, v5, s[2:3]
	v_lshlrev_b64 v[4:5], 3, v[7:8]
	v_mad_u64_u32 v[6:7], s[2:3], s13, v6, v[1:2]
	v_add_u32_e32 v11, 0x144, v0
	v_mad_u64_u32 v[7:8], s[2:3], s12, v11, 0
	v_add_co_u32_e64 v42, s[2:3], v12, v4
	v_mov_b32_e32 v10, v6
	v_mov_b32_e32 v1, v8
	v_addc_co_u32_e64 v43, s[2:3], v13, v5, s[2:3]
	v_lshlrev_b64 v[4:5], 3, v[9:10]
	v_mad_u64_u32 v[8:9], s[2:3], s13, v11, v[1:2]
	v_add_u32_e32 v6, 0x17a, v0
	v_mad_u64_u32 v[9:10], s[2:3], s12, v6, 0
	v_add_co_u32_e64 v44, s[2:3], v12, v4
	v_mov_b32_e32 v1, v10
	v_addc_co_u32_e64 v45, s[2:3], v13, v5, s[2:3]
	v_lshlrev_b64 v[4:5], 3, v[7:8]
	v_mad_u64_u32 v[6:7], s[2:3], s13, v6, v[1:2]
	v_add_u32_e32 v11, 0x1b0, v0
	v_mad_u64_u32 v[7:8], s[2:3], s12, v11, 0
	v_add_co_u32_e64 v46, s[2:3], v12, v4
	v_mov_b32_e32 v10, v6
	v_mov_b32_e32 v1, v8
	v_addc_co_u32_e64 v47, s[2:3], v13, v5, s[2:3]
	v_lshlrev_b64 v[4:5], 3, v[9:10]
	v_mad_u64_u32 v[8:9], s[2:3], s13, v11, v[1:2]
	v_add_u32_e32 v6, 0x1e6, v0
	;; [unrolled: 15-line block ×5, first 2 shown]
	v_mad_u64_u32 v[9:10], s[2:3], s12, v6, 0
	v_add_co_u32_e64 v60, s[2:3], v12, v4
	v_mov_b32_e32 v1, v10
	v_addc_co_u32_e64 v61, s[2:3], v13, v5, s[2:3]
	v_lshlrev_b64 v[4:5], 3, v[7:8]
	v_mad_u64_u32 v[6:7], s[2:3], s13, v6, v[1:2]
	v_add_u32_e32 v11, 0x360, v0
	v_mad_u64_u32 v[7:8], s[2:3], s12, v11, 0
	v_add_co_u32_e64 v62, s[2:3], v12, v4
	v_mov_b32_e32 v10, v6
	v_mov_b32_e32 v1, v8
	v_addc_co_u32_e64 v63, s[2:3], v13, v5, s[2:3]
	v_lshlrev_b64 v[4:5], 3, v[9:10]
	v_mad_u64_u32 v[8:9], s[2:3], s13, v11, v[1:2]
	v_add_co_u32_e64 v64, s[2:3], v12, v4
	v_addc_co_u32_e64 v65, s[2:3], v13, v5, s[2:3]
	v_lshlrev_b64 v[4:5], 3, v[7:8]
	v_add_co_u32_e64 v66, s[2:3], v12, v4
	v_addc_co_u32_e64 v67, s[2:3], v13, v5, s[2:3]
	global_load_dwordx2 v[4:5], v[34:35], off
	global_load_dwordx2 v[6:7], v[36:37], off
	;; [unrolled: 1-line block ×15, first 2 shown]
                                        ; kill: killed $vgpr42 killed $vgpr43
                                        ; kill: killed $vgpr56 killed $vgpr57
                                        ; kill: killed $vgpr46 killed $vgpr47
                                        ; kill: killed $vgpr36 killed $vgpr37
                                        ; kill: killed $vgpr60 killed $vgpr61
                                        ; kill: killed $vgpr50 killed $vgpr51
                                        ; kill: killed $vgpr40 killed $vgpr41
                                        ; kill: killed $vgpr54 killed $vgpr55
                                        ; kill: killed $vgpr44 killed $vgpr45
                                        ; kill: killed $vgpr34 killed $vgpr35
                                        ; kill: killed $vgpr58 killed $vgpr59
                                        ; kill: killed $vgpr48 killed $vgpr49
                                        ; kill: killed $vgpr38 killed $vgpr39
                                        ; kill: killed $vgpr62 killed $vgpr63
                                        ; kill: killed $vgpr52 killed $vgpr53
	global_load_dwordx2 v[34:35], v[64:65], off
	global_load_dwordx2 v[36:37], v[66:67], off
.LBB0_11:
	s_or_b64 exec, exec, s[4:5]
	s_waitcnt vmcnt(0)
	v_sub_f32_e32 v1, v7, v37
	v_add_f32_e32 v45, v6, v36
	s_mov_b32 s2, 0xbf7ba420
	v_mul_f32_e32 v54, 0xbe3c28d5, v1
	v_fma_f32 v38, v45, s2, -v54
	v_add_f32_e32 v39, v4, v38
	v_sub_f32_e32 v38, v9, v35
	v_add_f32_e32 v47, v8, v34
	s_mov_b32 s2, 0x3f6eb680
	v_mul_f32_e32 v55, 0x3eb8f4ab, v38
	v_fma_f32 v40, v47, s2, -v55
	v_add_f32_e32 v40, v39, v40
	;; [unrolled: 6-line block ×3, first 2 shown]
	v_sub_f32_e32 v40, v13, v25
	s_mov_b32 s2, 0x3f3d2fb0
	v_add_f32_e32 v49, v12, v24
	v_mul_f32_e32 v57, 0x3f2c7751, v40
	v_fma_f32 v42, v49, s2, -v57
	v_add_f32_e32 v42, v41, v42
	v_sub_f32_e32 v41, v15, v27
	s_mov_b32 s2, 0xbf1a4643
	v_add_f32_e32 v50, v14, v26
	v_mul_f32_e32 v58, 0xbf4c4adb, v41
	v_fma_f32 v43, v50, s2, -v58
	v_add_f32_e32 v43, v42, v43
	;; [unrolled: 6-line block ×5, first 2 shown]
	s_and_saveexec_b64 s[2:3], s[0:1]
	s_cbranch_execz .LBB0_13
; %bb.12:
	v_mul_f32_e32 v62, 0x3f6eb680, v45
	v_mov_b32_e32 v63, v62
	v_fmac_f32_e32 v62, 0xbeb8f4ab, v1
	v_mul_f32_e32 v64, 0x3f3d2fb0, v47
	v_mov_b32_e32 v65, v64
	v_fmac_f32_e32 v64, 0xbf2c7751, v38
	v_add_f32_e32 v62, v4, v62
	v_add_f32_e32 v62, v62, v64
	v_mul_f32_e32 v64, 0x3ee437d1, v48
	v_mov_b32_e32 v66, v64
	v_fmac_f32_e32 v64, 0xbf65296c, v39
	v_add_f32_e32 v62, v62, v64
	v_mul_f32_e32 v64, 0x3dbcf732, v49
	v_mov_b32_e32 v67, v64
	v_fmac_f32_e32 v64, 0xbf7ee86f, v40
	;; [unrolled: 4-line block ×6, first 2 shown]
	v_add_f32_e32 v62, v62, v64
	v_add_f32_e32 v64, v4, v6
	v_add_f32_e32 v64, v64, v8
	v_add_f32_e32 v64, v64, v10
	v_add_f32_e32 v64, v64, v12
	v_add_f32_e32 v64, v64, v14
	v_add_f32_e32 v64, v64, v16
	v_add_f32_e32 v64, v64, v18
	v_add_f32_e32 v64, v64, v20
	v_add_f32_e32 v64, v64, v32
	v_add_f32_e32 v64, v30, v64
	v_add_f32_e32 v64, v28, v64
	v_add_f32_e32 v64, v26, v64
	v_add_f32_e32 v64, v24, v64
	v_add_f32_e32 v64, v22, v64
	v_add_f32_e32 v64, v34, v64
	s_movk_i32 s4, 0x44
	v_add_f32_e32 v64, v36, v64
	v_mad_u32_u24 v72, v0, s4, 0
	ds_write2_b32 v72, v64, v62 offset1:1
	v_mul_f32_e32 v62, 0xbf7ba420, v45
	v_add_f32_e32 v54, v54, v62
	v_mul_f32_e32 v62, 0x3f6eb680, v47
	v_add_f32_e32 v55, v55, v62
	v_add_f32_e32 v54, v4, v54
	;; [unrolled: 1-line block ×3, first 2 shown]
	v_mul_f32_e32 v55, 0xbf59a7d5, v48
	v_add_f32_e32 v55, v56, v55
	v_add_f32_e32 v54, v54, v55
	v_mul_f32_e32 v55, 0x3f3d2fb0, v49
	v_add_f32_e32 v55, v57, v55
	v_add_f32_e32 v54, v54, v55
	;; [unrolled: 3-line block ×6, first 2 shown]
	v_mul_f32_e32 v55, 0xbf59a7d5, v45
	v_mov_b32_e32 v56, v55
	v_mul_f32_e32 v57, 0x3ee437d1, v47
	v_fmac_f32_e32 v56, 0x3f06c442, v1
	v_mov_b32_e32 v58, v57
	v_add_f32_e32 v56, v4, v56
	v_fmac_f32_e32 v58, 0xbf65296c, v38
	v_add_f32_e32 v56, v56, v58
	v_mul_f32_e32 v58, 0x3dbcf732, v48
	v_mov_b32_e32 v59, v58
	v_fmac_f32_e32 v59, 0x3f7ee86f, v39
	v_add_f32_e32 v56, v56, v59
	v_mul_f32_e32 v59, 0xbf1a4643, v49
	v_fmac_f32_e32 v55, 0xbf06c442, v1
	v_mov_b32_e32 v60, v59
	v_add_f32_e32 v55, v4, v55
	v_fmac_f32_e32 v57, 0x3f65296c, v38
	v_fmac_f32_e32 v60, 0xbf4c4adb, v40
	v_add_f32_e32 v55, v55, v57
	v_fmac_f32_e32 v58, 0xbf7ee86f, v39
	v_add_f32_e32 v56, v56, v60
	v_mul_f32_e32 v60, 0x3f6eb680, v50
	v_add_f32_e32 v55, v55, v58
	v_fmac_f32_e32 v59, 0x3f4c4adb, v40
	v_mul_f32_e32 v57, 0xbf1a4643, v45
	v_mov_b32_e32 v61, v60
	v_add_f32_e32 v55, v55, v59
	v_fmac_f32_e32 v60, 0xbeb8f4ab, v41
	v_mov_b32_e32 v58, v57
	v_mul_f32_e32 v59, 0xbe8c1d8e, v47
	v_fmac_f32_e32 v61, 0x3eb8f4ab, v41
	v_add_f32_e32 v55, v55, v60
	v_fmac_f32_e32 v58, 0x3f4c4adb, v1
	v_mov_b32_e32 v60, v59
	v_add_f32_e32 v56, v56, v61
	v_mul_f32_e32 v61, 0xbf7ba420, v51
	v_add_f32_e32 v58, v4, v58
	v_fmac_f32_e32 v60, 0xbf763a35, v38
	v_mov_b32_e32 v62, v61
	v_fmac_f32_e32 v61, 0xbe3c28d5, v42
	v_add_f32_e32 v58, v58, v60
	v_mul_f32_e32 v60, 0x3f6eb680, v48
	v_fmac_f32_e32 v62, 0x3e3c28d5, v42
	v_add_f32_e32 v55, v55, v61
	v_mov_b32_e32 v61, v60
	v_add_f32_e32 v56, v56, v62
	v_mul_f32_e32 v62, 0x3f3d2fb0, v52
	v_fmac_f32_e32 v61, 0x3eb8f4ab, v39
	v_mov_b32_e32 v64, v62
	v_fmac_f32_e32 v62, 0x3f2c7751, v43
	v_add_f32_e32 v58, v58, v61
	v_mul_f32_e32 v61, 0xbf59a7d5, v49
	v_fmac_f32_e32 v57, 0xbf4c4adb, v1
	v_fmac_f32_e32 v64, 0xbf2c7751, v43
	v_add_f32_e32 v55, v55, v62
	v_mov_b32_e32 v62, v61
	v_add_f32_e32 v57, v4, v57
	v_fmac_f32_e32 v59, 0x3f763a35, v38
	v_add_f32_e32 v56, v56, v64
	v_mul_f32_e32 v64, 0xbe8c1d8e, v53
	v_fmac_f32_e32 v62, 0x3f06c442, v40
	v_add_f32_e32 v57, v57, v59
	v_fmac_f32_e32 v60, 0xbeb8f4ab, v39
	v_mov_b32_e32 v73, v64
	v_fmac_f32_e32 v64, 0xbf763a35, v44
	v_add_f32_e32 v58, v58, v62
	v_mul_f32_e32 v62, 0x3dbcf732, v50
	v_add_f32_e32 v57, v57, v60
	v_fmac_f32_e32 v61, 0xbf06c442, v40
	v_mul_f32_e32 v59, 0xbe8c1d8e, v45
	v_add_f32_e32 v55, v55, v64
	v_mov_b32_e32 v64, v62
	v_add_f32_e32 v57, v57, v61
	v_fmac_f32_e32 v62, 0x3f7ee86f, v41
	v_mov_b32_e32 v60, v59
	v_mul_f32_e32 v61, 0xbf59a7d5, v47
	v_fmac_f32_e32 v64, 0xbf7ee86f, v41
	v_add_f32_e32 v57, v57, v62
	v_fmac_f32_e32 v60, 0x3f763a35, v1
	v_mov_b32_e32 v62, v61
	v_fmac_f32_e32 v73, 0x3f763a35, v44
	v_add_f32_e32 v58, v58, v64
	v_mul_f32_e32 v64, 0x3f3d2fb0, v51
	v_add_f32_e32 v60, v4, v60
	v_fmac_f32_e32 v62, 0xbf06c442, v38
	v_add_f32_e32 v56, v56, v73
	v_mov_b32_e32 v73, v64
	v_fmac_f32_e32 v64, 0xbf2c7751, v42
	v_add_f32_e32 v60, v60, v62
	v_mul_f32_e32 v62, 0x3f3d2fb0, v48
	v_fmac_f32_e32 v73, 0x3f2c7751, v42
	v_add_f32_e32 v57, v57, v64
	v_mov_b32_e32 v64, v62
	v_add_f32_e32 v58, v58, v73
	v_mul_f32_e32 v73, 0xbf7ba420, v52
	v_fmac_f32_e32 v64, 0xbf2c7751, v39
	v_mov_b32_e32 v74, v73
	v_fmac_f32_e32 v73, 0xbe3c28d5, v43
	v_add_f32_e32 v60, v60, v64
	v_mul_f32_e32 v64, 0x3ee437d1, v49
	v_fmac_f32_e32 v59, 0xbf763a35, v1
	v_fmac_f32_e32 v74, 0x3e3c28d5, v43
	v_add_f32_e32 v57, v57, v73
	v_mov_b32_e32 v73, v64
	v_add_f32_e32 v59, v4, v59
	v_fmac_f32_e32 v61, 0x3f06c442, v38
	v_add_f32_e32 v58, v58, v74
	v_mul_f32_e32 v74, 0x3ee437d1, v53
	v_fmac_f32_e32 v73, 0x3f65296c, v40
	v_add_f32_e32 v59, v59, v61
	v_fmac_f32_e32 v62, 0x3f2c7751, v39
	v_mov_b32_e32 v75, v74
	v_fmac_f32_e32 v74, 0x3f65296c, v44
	v_add_f32_e32 v60, v60, v73
	v_mul_f32_e32 v73, 0xbf7ba420, v50
	v_add_f32_e32 v59, v59, v62
	v_fmac_f32_e32 v64, 0xbf65296c, v40
	v_mul_f32_e32 v61, 0x3dbcf732, v45
	v_add_f32_e32 v57, v57, v74
	v_mov_b32_e32 v74, v73
	v_add_f32_e32 v59, v59, v64
	v_fmac_f32_e32 v73, 0xbe3c28d5, v41
	v_mov_b32_e32 v62, v61
	v_mul_f32_e32 v64, 0xbf7ba420, v47
	v_fmac_f32_e32 v74, 0x3e3c28d5, v41
	v_add_f32_e32 v59, v59, v73
	v_fmac_f32_e32 v62, 0x3f7ee86f, v1
	v_mov_b32_e32 v73, v64
	v_fmac_f32_e32 v75, 0xbf65296c, v44
	v_add_f32_e32 v60, v60, v74
	v_mul_f32_e32 v74, 0x3dbcf732, v51
	v_add_f32_e32 v62, v4, v62
	v_fmac_f32_e32 v73, 0x3e3c28d5, v38
	v_add_f32_e32 v58, v58, v75
	;; [unrolled: 48-line block ×3, first 2 shown]
	v_mov_b32_e32 v77, v76
	v_fmac_f32_e32 v76, 0xbf06c442, v42
	v_add_f32_e32 v73, v73, v75
	v_mul_f32_e32 v75, 0xbf7ba420, v48
	v_fmac_f32_e32 v77, 0x3f06c442, v42
	v_add_f32_e32 v61, v61, v76
	v_mov_b32_e32 v76, v75
	v_fmac_f32_e32 v64, 0xbf65296c, v1
	v_add_f32_e32 v62, v62, v77
	v_mul_f32_e32 v77, 0xbf1a4643, v52
	v_fmac_f32_e32 v76, 0xbe3c28d5, v39
	v_add_f32_e32 v64, v4, v64
	v_fmac_f32_e32 v74, 0xbf4c4adb, v38
	v_mul_f32_e32 v45, 0x3f3d2fb0, v45
	v_mov_b32_e32 v78, v77
	v_fmac_f32_e32 v77, 0x3f4c4adb, v43
	v_add_f32_e32 v73, v73, v76
	v_mul_f32_e32 v76, 0xbe8c1d8e, v49
	v_add_f32_e32 v64, v64, v74
	v_fmac_f32_e32 v75, 0x3e3c28d5, v39
	v_mov_b32_e32 v74, v45
	v_mul_f32_e32 v47, 0x3dbcf732, v47
	v_fmac_f32_e32 v78, 0xbf4c4adb, v43
	v_add_f32_e32 v61, v61, v77
	v_mov_b32_e32 v77, v76
	v_add_f32_e32 v64, v64, v75
	v_fmac_f32_e32 v74, 0x3f2c7751, v1
	v_mov_b32_e32 v75, v47
	v_add_f32_e32 v62, v62, v78
	v_mul_f32_e32 v78, 0x3f3d2fb0, v53
	v_fmac_f32_e32 v77, 0xbf763a35, v40
	v_add_f32_e32 v74, v4, v74
	v_fmac_f32_e32 v75, 0x3f7ee86f, v38
	v_mul_f32_e32 v48, 0xbf1a4643, v48
	v_mov_b32_e32 v79, v78
	v_fmac_f32_e32 v78, 0x3f2c7751, v44
	v_add_f32_e32 v73, v73, v77
	v_mul_f32_e32 v77, 0x3f3d2fb0, v50
	v_add_f32_e32 v74, v74, v75
	v_mov_b32_e32 v75, v48
	v_add_f32_e32 v61, v61, v78
	v_mov_b32_e32 v78, v77
	v_fmac_f32_e32 v75, 0x3f4c4adb, v39
	v_mul_f32_e32 v49, 0xbf7ba420, v49
	v_fmac_f32_e32 v78, 0xbf2c7751, v41
	v_add_f32_e32 v74, v74, v75
	v_mov_b32_e32 v75, v49
	v_fmac_f32_e32 v79, 0xbf2c7751, v44
	v_add_f32_e32 v73, v73, v78
	v_mul_f32_e32 v78, 0x3f6eb680, v51
	v_fmac_f32_e32 v75, 0x3e3c28d5, v40
	v_mul_f32_e32 v50, 0xbf59a7d5, v50
	v_fmac_f32_e32 v45, 0xbf2c7751, v1
	v_add_f32_e32 v62, v62, v79
	v_mov_b32_e32 v79, v78
	v_add_f32_e32 v74, v74, v75
	v_mov_b32_e32 v75, v50
	v_add_f32_e32 v45, v4, v45
	v_fmac_f32_e32 v47, 0xbf7ee86f, v38
	v_fmac_f32_e32 v63, 0x3eb8f4ab, v1
	;; [unrolled: 1-line block ×4, first 2 shown]
	v_mul_f32_e32 v51, 0xbe8c1d8e, v51
	v_add_f32_e32 v45, v45, v47
	v_fmac_f32_e32 v48, 0xbf4c4adb, v39
	v_fmac_f32_e32 v65, 0x3f2c7751, v38
	v_add_f32_e32 v1, v4, v63
	v_add_f32_e32 v73, v73, v79
	v_mul_f32_e32 v79, 0x3dbcf732, v52
	v_fmac_f32_e32 v76, 0x3f763a35, v40
	v_add_f32_e32 v74, v74, v75
	v_mov_b32_e32 v75, v51
	v_add_f32_e32 v45, v45, v48
	v_fmac_f32_e32 v49, 0xbe3c28d5, v40
	v_add_f32_e32 v1, v1, v65
	v_fmac_f32_e32 v66, 0x3f65296c, v39
	v_mov_b32_e32 v80, v79
	v_add_f32_e32 v64, v64, v76
	v_fmac_f32_e32 v77, 0x3f2c7751, v41
	v_fmac_f32_e32 v75, 0xbf763a35, v42
	v_mul_f32_e32 v52, 0x3ee437d1, v52
	v_add_f32_e32 v45, v45, v49
	v_fmac_f32_e32 v50, 0x3f06c442, v41
	v_add_f32_e32 v1, v1, v66
	v_fmac_f32_e32 v67, 0x3f7ee86f, v40
	v_fmac_f32_e32 v80, 0x3f7ee86f, v43
	v_add_f32_e32 v64, v64, v77
	v_fmac_f32_e32 v78, 0xbeb8f4ab, v42
	v_add_f32_e32 v74, v74, v75
	v_mov_b32_e32 v75, v52
	v_add_f32_e32 v45, v45, v50
	v_fmac_f32_e32 v51, 0x3f763a35, v42
	v_add_f32_e32 v1, v1, v67
	v_fmac_f32_e32 v68, 0x3f763a35, v41
	v_add_f32_e32 v73, v73, v80
	v_mul_f32_e32 v80, 0xbf59a7d5, v53
	v_add_f32_e32 v64, v64, v78
	v_fmac_f32_e32 v79, 0xbf7ee86f, v43
	v_fmac_f32_e32 v75, 0xbf65296c, v43
	v_mul_f32_e32 v53, 0x3f6eb680, v53
	v_add_f32_e32 v45, v45, v51
	v_fmac_f32_e32 v52, 0x3f65296c, v43
	v_add_f32_e32 v1, v1, v68
	v_fmac_f32_e32 v69, 0x3f4c4adb, v42
	v_mov_b32_e32 v81, v80
	v_add_f32_e32 v64, v64, v79
	v_fmac_f32_e32 v80, 0xbf06c442, v44
	v_add_f32_e32 v74, v74, v75
	v_mov_b32_e32 v75, v53
	v_add_f32_e32 v45, v45, v52
	v_fmac_f32_e32 v53, 0x3eb8f4ab, v44
	v_add_f32_e32 v1, v1, v69
	v_fmac_f32_e32 v70, 0x3f06c442, v43
	v_fmac_f32_e32 v81, 0x3f06c442, v44
	v_add_f32_e32 v64, v64, v80
	v_fmac_f32_e32 v75, 0xbeb8f4ab, v44
	v_add_f32_e32 v45, v45, v53
	v_add_f32_e32 v1, v1, v70
	v_fmac_f32_e32 v71, 0x3e3c28d5, v44
	v_add_f32_e32 v73, v73, v81
	v_add_f32_e32 v74, v74, v75
	;; [unrolled: 1-line block ×3, first 2 shown]
	ds_write2_b32 v72, v45, v64 offset0:2 offset1:3
	ds_write2_b32 v72, v61, v59 offset0:4 offset1:5
	;; [unrolled: 1-line block ×7, first 2 shown]
	ds_write_b32 v72, v1 offset:64
.LBB0_13:
	s_or_b64 exec, exec, s[2:3]
	v_sub_f32_e32 v60, v6, v36
	v_mul_f32_e32 v59, 0xbe3c28d5, v60
	v_sub_f32_e32 v57, v8, v34
	v_add_f32_e32 v58, v7, v37
	v_mov_b32_e32 v1, v59
	v_mul_f32_e32 v56, 0x3eb8f4ab, v57
	v_fmac_f32_e32 v1, 0xbf7ba420, v58
	v_add_f32_e32 v55, v9, v35
	v_mov_b32_e32 v4, v56
	v_sub_f32_e32 v54, v10, v22
	v_add_f32_e32 v1, v5, v1
	v_fmac_f32_e32 v4, 0x3f6eb680, v55
	v_mul_f32_e32 v53, 0xbf06c442, v54
	v_add_f32_e32 v1, v1, v4
	v_add_f32_e32 v52, v11, v23
	v_mov_b32_e32 v4, v53
	v_sub_f32_e32 v51, v12, v24
	v_fmac_f32_e32 v4, 0xbf59a7d5, v52
	v_mul_f32_e32 v50, 0x3f2c7751, v51
	v_add_f32_e32 v1, v1, v4
	v_add_f32_e32 v49, v13, v25
	v_mov_b32_e32 v4, v50
	v_sub_f32_e32 v48, v14, v26
	;; [unrolled: 6-line block ×4, first 2 shown]
	v_fmac_f32_e32 v4, 0x3ee437d1, v24
	v_mul_f32_e32 v18, 0xbf763a35, v22
	v_add_f32_e32 v1, v1, v4
	v_add_f32_e32 v16, v19, v31
	v_mov_b32_e32 v4, v18
	v_fmac_f32_e32 v4, 0xbe8c1d8e, v16
	v_sub_f32_e32 v14, v20, v32
	v_lshl_add_u32 v32, v0, 2, 0
	v_add_f32_e32 v30, v1, v4
	v_add_u32_e32 v1, 0x200, v32
	v_add_u32_e32 v10, 0x400, v32
	;; [unrolled: 1-line block ×3, first 2 shown]
	s_waitcnt lgkmcnt(0)
	s_barrier
	ds_read2_b32 v[38:39], v32 offset1:102
	ds_read2_b32 v[44:45], v1 offset0:76 offset1:178
	ds_read2_b32 v[42:43], v10 offset0:152 offset1:254
	;; [unrolled: 1-line block ×3, first 2 shown]
	ds_read_b32 v8, v32 offset:3264
	v_mul_f32_e32 v12, 0x3f7ee86f, v14
	v_add_f32_e32 v4, v21, v33
	v_mov_b32_e32 v20, v12
	v_fmac_f32_e32 v20, 0x3dbcf732, v4
	v_add_f32_e32 v34, v30, v20
	s_waitcnt lgkmcnt(0)
	s_barrier
	s_and_saveexec_b64 s[2:3], s[0:1]
	s_cbranch_execz .LBB0_15
; %bb.14:
	v_add_f32_e32 v7, v5, v7
	v_add_f32_e32 v7, v7, v9
	;; [unrolled: 1-line block ×13, first 2 shown]
	v_mul_f32_e32 v20, 0xbf7ba420, v58
	v_add_f32_e32 v7, v23, v7
	v_mul_f32_e32 v9, 0xbeb8f4ab, v60
	s_mov_b32 s5, 0x3f6eb680
	v_mul_f32_e32 v13, 0xbf2c7751, v60
	s_mov_b32 s1, 0x3f3d2fb0
	;; [unrolled: 2-line block ×7, first 2 shown]
	v_add_f32_e32 v7, v35, v7
	v_fma_f32 v11, v58, s5, -v9
	v_fmac_f32_e32 v9, 0x3f6eb680, v58
	v_fma_f32 v15, v58, s1, -v13
	v_fmac_f32_e32 v13, 0x3f3d2fb0, v58
	;; [unrolled: 2-line block ×7, first 2 shown]
	v_sub_f32_e32 v20, v20, v59
	v_add_f32_e32 v11, v5, v11
	v_add_f32_e32 v9, v5, v9
	;; [unrolled: 1-line block ×15, first 2 shown]
	v_mul_f32_e32 v20, 0xbf2c7751, v57
	v_add_f32_e32 v7, v37, v7
	v_fma_f32 v37, v55, s1, -v20
	v_fmac_f32_e32 v20, 0x3f3d2fb0, v55
	v_add_f32_e32 v9, v9, v20
	v_mul_f32_e32 v20, 0xbf7ee86f, v57
	v_add_f32_e32 v11, v11, v37
	v_fma_f32 v37, v55, s10, -v20
	v_fmac_f32_e32 v20, 0x3dbcf732, v55
	v_add_f32_e32 v13, v13, v20
	;; [unrolled: 5-line block ×3, first 2 shown]
	v_mul_f32_e32 v20, 0xbe3c28d5, v57
	s_mov_b32 s11, 0xbf7ba420
	v_add_f32_e32 v19, v19, v37
	v_fma_f32 v37, v55, s11, -v20
	v_fmac_f32_e32 v20, 0xbf7ba420, v55
	v_add_f32_e32 v20, v21, v20
	v_mul_f32_e32 v21, 0x3f06c442, v57
	v_add_f32_e32 v23, v23, v37
	v_fma_f32 v37, v55, s7, -v21
	v_fmac_f32_e32 v21, 0xbf59a7d5, v55
	v_add_f32_e32 v21, v25, v21
	v_mul_f32_e32 v25, 0x3f763a35, v57
	v_mul_f32_e32 v30, 0x3f6eb680, v55
	v_add_f32_e32 v27, v27, v37
	v_fma_f32 v37, v55, s4, -v25
	v_fmac_f32_e32 v25, 0xbe8c1d8e, v55
	v_add_f32_e32 v25, v29, v25
	v_mul_f32_e32 v29, 0x3f65296c, v57
	v_sub_f32_e32 v30, v30, v56
	v_add_f32_e32 v31, v31, v37
	v_fma_f32 v37, v55, s0, -v29
	v_fmac_f32_e32 v29, 0x3ee437d1, v55
	v_add_f32_e32 v5, v5, v30
	v_mul_f32_e32 v30, 0xbf65296c, v54
	v_add_f32_e32 v29, v33, v29
	v_fma_f32 v33, v52, s0, -v30
	v_fmac_f32_e32 v30, 0x3ee437d1, v52
	v_add_f32_e32 v9, v9, v30
	v_mul_f32_e32 v30, 0xbf4c4adb, v54
	;; [unrolled: 5-line block ×7, first 2 shown]
	v_mul_f32_e32 v61, 0xbf59a7d5, v52
	v_add_f32_e32 v31, v31, v33
	v_fma_f32 v33, v52, s10, -v30
	v_fmac_f32_e32 v30, 0x3dbcf732, v52
	v_add_f32_e32 v29, v29, v30
	v_sub_f32_e32 v30, v61, v53
	v_add_f32_e32 v35, v35, v37
	v_add_f32_e32 v5, v5, v30
	v_mul_f32_e32 v30, 0xbf7ee86f, v51
	v_add_f32_e32 v33, v35, v33
	v_fma_f32 v35, v49, s10, -v30
	v_fmac_f32_e32 v30, 0x3dbcf732, v49
	v_add_f32_e32 v9, v9, v30
	v_mul_f32_e32 v30, 0xbe3c28d5, v51
	v_add_f32_e32 v11, v11, v35
	v_fma_f32 v35, v49, s11, -v30
	v_fmac_f32_e32 v30, 0xbf7ba420, v49
	;; [unrolled: 5-line block ×6, first 2 shown]
	v_add_f32_e32 v25, v25, v30
	v_mul_f32_e32 v30, 0x3f4c4adb, v51
	v_mul_f32_e32 v62, 0x3f3d2fb0, v49
	v_add_f32_e32 v31, v31, v35
	v_fma_f32 v35, v49, s6, -v30
	v_fmac_f32_e32 v30, 0xbf1a4643, v49
	v_add_f32_e32 v29, v29, v30
	v_sub_f32_e32 v30, v62, v50
	v_add_f32_e32 v5, v5, v30
	v_mul_f32_e32 v30, 0xbf763a35, v48
	v_add_f32_e32 v33, v33, v35
	v_fma_f32 v35, v36, s4, -v30
	v_fmac_f32_e32 v30, 0xbe8c1d8e, v36
	v_add_f32_e32 v9, v9, v30
	v_mul_f32_e32 v30, 0x3f06c442, v48
	v_add_f32_e32 v11, v11, v35
	v_fma_f32 v35, v36, s7, -v30
	v_fmac_f32_e32 v30, 0xbf59a7d5, v36
	;; [unrolled: 5-line block ×6, first 2 shown]
	v_add_f32_e32 v25, v25, v30
	v_mul_f32_e32 v30, 0xbeb8f4ab, v48
	v_mul_f32_e32 v63, 0xbf1a4643, v36
	v_add_f32_e32 v31, v31, v35
	v_fma_f32 v35, v36, s5, -v30
	v_fmac_f32_e32 v30, 0x3f6eb680, v36
	v_add_f32_e32 v29, v29, v30
	v_sub_f32_e32 v30, v63, v47
	v_add_f32_e32 v5, v5, v30
	v_mul_f32_e32 v30, 0xbf4c4adb, v28
	v_add_f32_e32 v33, v33, v35
	v_fma_f32 v35, v24, s6, -v30
	v_fmac_f32_e32 v30, 0xbf1a4643, v24
	v_add_f32_e32 v9, v9, v30
	v_mul_f32_e32 v30, 0x3f763a35, v28
	v_add_f32_e32 v11, v11, v35
	v_fma_f32 v35, v24, s4, -v30
	v_fmac_f32_e32 v30, 0xbe8c1d8e, v24
	;; [unrolled: 5-line block ×5, first 2 shown]
	v_mul_f32_e32 v64, 0x3ee437d1, v24
	v_add_f32_e32 v21, v21, v30
	v_mul_f32_e32 v30, 0xbf2c7751, v28
	v_add_f32_e32 v27, v27, v35
	v_fma_f32 v35, v24, s1, -v30
	v_fmac_f32_e32 v30, 0x3f3d2fb0, v24
	v_mul_f32_e32 v28, 0xbe3c28d5, v28
	v_sub_f32_e32 v26, v64, v26
	v_add_f32_e32 v25, v25, v30
	v_fma_f32 v30, v24, s11, -v28
	v_fmac_f32_e32 v28, 0xbf7ba420, v24
	v_add_f32_e32 v5, v5, v26
	v_mul_f32_e32 v26, 0xbf06c442, v22
	v_add_f32_e32 v24, v29, v28
	v_fma_f32 v28, v16, s7, -v26
	v_fmac_f32_e32 v26, 0xbf59a7d5, v16
	v_add_f32_e32 v9, v9, v26
	v_mul_f32_e32 v26, 0x3f65296c, v22
	;; [unrolled: 5-line block ×5, first 2 shown]
	v_add_f32_e32 v23, v23, v28
	v_fma_f32 v28, v16, s5, -v26
	v_fmac_f32_e32 v26, 0x3f6eb680, v16
	v_mul_f32_e32 v65, 0xbe8c1d8e, v16
	v_add_f32_e32 v21, v21, v26
	v_mul_f32_e32 v26, 0xbe3c28d5, v22
	v_add_f32_e32 v27, v27, v28
	v_fma_f32 v28, v16, s11, -v26
	v_fmac_f32_e32 v26, 0xbf7ba420, v16
	v_mul_f32_e32 v22, 0x3f2c7751, v22
	v_sub_f32_e32 v18, v65, v18
	v_add_f32_e32 v25, v25, v26
	v_fma_f32 v26, v16, s1, -v22
	v_fmac_f32_e32 v22, 0x3f3d2fb0, v16
	v_add_f32_e32 v5, v5, v18
	v_mul_f32_e32 v18, 0xbe3c28d5, v14
	v_add_f32_e32 v16, v24, v22
	v_fma_f32 v22, v4, s11, -v18
	v_fmac_f32_e32 v18, 0xbf7ba420, v4
	v_add_f32_e32 v9, v9, v18
	v_mul_f32_e32 v18, 0x3eb8f4ab, v14
	;; [unrolled: 5-line block ×5, first 2 shown]
	v_add_f32_e32 v22, v23, v22
	v_fma_f32 v23, v4, s6, -v20
	v_fmac_f32_e32 v20, 0xbf1a4643, v4
	v_mul_f32_e32 v66, 0x3dbcf732, v4
	v_add_f32_e32 v20, v21, v20
	v_mul_f32_e32 v21, 0x3f65296c, v14
	v_add_f32_e32 v31, v31, v35
	v_add_f32_e32 v30, v33, v30
	v_fma_f32 v24, v4, s0, -v21
	v_fmac_f32_e32 v21, 0x3ee437d1, v4
	v_mul_f32_e32 v14, 0xbf763a35, v14
	v_sub_f32_e32 v12, v66, v12
	v_add_f32_e32 v28, v31, v28
	v_add_f32_e32 v26, v30, v26
	v_add_f32_e32 v21, v25, v21
	v_fma_f32 v25, v4, s4, -v14
	v_fmac_f32_e32 v14, 0xbe8c1d8e, v4
	v_add_f32_e32 v5, v5, v12
	v_lshl_add_u32 v12, v0, 6, v32
	v_add_f32_e32 v23, v27, v23
	v_add_f32_e32 v24, v28, v24
	;; [unrolled: 1-line block ×4, first 2 shown]
	ds_write2_b32 v12, v7, v11 offset1:1
	ds_write2_b32 v12, v15, v19 offset0:2 offset1:3
	ds_write2_b32 v12, v22, v23 offset0:4 offset1:5
	;; [unrolled: 1-line block ×7, first 2 shown]
	ds_write_b32 v12, v9 offset:64
.LBB0_15:
	s_or_b64 exec, exec, s[2:3]
	s_movk_i32 s0, 0xf1
	v_mul_lo_u16_sdwa v4, v0, s0 dst_sel:DWORD dst_unused:UNUSED_PAD src0_sel:BYTE_0 src1_sel:DWORD
	v_lshrrev_b16_e32 v7, 12, v4
	v_mul_lo_u16_e32 v4, 17, v7
	v_sub_u16_e32 v31, v0, v4
	v_mov_b32_e32 v4, 6
	v_lshlrev_b32_sdwa v4, v4, v31 dst_sel:DWORD dst_unused:UNUSED_PAD src0_sel:DWORD src1_sel:BYTE_0
	s_waitcnt lgkmcnt(0)
	s_barrier
	global_load_dwordx4 v[11:14], v4, s[8:9]
	global_load_dwordx4 v[25:28], v4, s[8:9] offset:16
	global_load_dwordx4 v[47:50], v4, s[8:9] offset:32
	;; [unrolled: 1-line block ×3, first 2 shown]
	ds_read2_b32 v[4:5], v32 offset1:102
	ds_read2_b32 v[29:30], v1 offset0:76 offset1:178
	ds_read2_b32 v[9:10], v10 offset0:152 offset1:254
	;; [unrolled: 1-line block ×3, first 2 shown]
	ds_read_b32 v33, v32 offset:3264
	v_mov_b32_e32 v37, v38
	v_mov_b32_e32 v55, v38
	s_mov_b32 s4, 0xbf248dbb
	v_mul_u32_u24_e32 v7, 0x264, v7
	s_waitcnt vmcnt(0) lgkmcnt(0)
	s_barrier
	v_cmp_gt_u32_e64 s[0:1], 51, v0
	v_mul_f32_e32 v16, v5, v12
	v_mul_f32_e32 v12, v39, v12
	;; [unrolled: 1-line block ×12, first 2 shown]
	v_fma_f32 v23, v5, v11, -v12
	v_fmac_f32_e32 v18, v44, v13
	v_fma_f32 v24, v29, v13, -v14
	v_fma_f32 v13, v9, v27, -v28
	;; [unrolled: 1-line block ×3, first 2 shown]
	v_mul_f32_e32 v19, v30, v26
	v_mul_f32_e32 v26, v45, v26
	;; [unrolled: 1-line block ×4, first 2 shown]
	v_fmac_f32_e32 v16, v39, v11
	v_fmac_f32_e32 v15, v42, v27
	;; [unrolled: 1-line block ×3, first 2 shown]
	v_fma_f32 v14, v10, v47, -v48
	v_fma_f32 v27, v36, v51, -v52
	v_fmac_f32_e32 v22, v8, v53
	v_sub_f32_e32 v10, v23, v28
	v_fmac_f32_e32 v19, v45, v25
	v_fma_f32 v25, v30, v25, -v26
	v_fma_f32 v26, v35, v49, -v50
	v_fmac_f32_e32 v21, v41, v51
	v_add_f32_e32 v5, v16, v22
	v_sub_f32_e32 v11, v24, v27
	v_sub_f32_e32 v29, v13, v14
	v_add_f32_e32 v30, v15, v17
	v_mul_f32_e32 v33, 0x3f248dbb, v10
	v_fmac_f32_e32 v20, v40, v49
	v_add_f32_e32 v8, v18, v21
	v_sub_f32_e32 v12, v25, v26
	v_fmac_f32_e32 v37, 0x3f441b7d, v5
	v_mul_f32_e32 v36, 0xbf248dbb, v29
	v_fmac_f32_e32 v55, 0x3f441b7d, v30
	v_fmac_f32_e32 v33, 0x3f7c1c5c, v11
	v_add_f32_e32 v9, v19, v20
	v_add_f32_e32 v40, v8, v5
	v_mul_f32_e32 v41, 0x3f7c1c5c, v29
	v_fmac_f32_e32 v37, 0x3e31d0d4, v8
	v_fmac_f32_e32 v36, 0x3f7c1c5c, v10
	;; [unrolled: 1-line block ×4, first 2 shown]
	v_add_f32_e32 v35, v29, v10
	v_fma_f32 v41, v11, s4, -v41
	v_fmac_f32_e32 v37, -0.5, v9
	v_fmac_f32_e32 v36, 0xbf5db3d7, v12
	v_fmac_f32_e32 v55, -0.5, v9
	v_fmac_f32_e32 v33, 0x3eaf1d44, v29
	v_add_f32_e32 v29, v9, v40
	v_add_f32_e32 v39, v38, v9
	;; [unrolled: 1-line block ×3, first 2 shown]
	v_fmac_f32_e32 v41, 0x3f5db3d7, v12
	v_fmac_f32_e32 v37, 0xbf708fb2, v30
	;; [unrolled: 1-line block ×4, first 2 shown]
	v_add_f32_e32 v29, v15, v29
	v_sub_f32_e32 v35, v35, v11
	v_fmac_f32_e32 v39, -0.5, v42
	v_fmac_f32_e32 v41, 0x3eaf1d44, v10
	v_sub_f32_e32 v10, v37, v33
	v_sub_f32_e32 v11, v55, v36
	v_add_f32_e32 v29, v17, v29
	v_mul_f32_e32 v43, 0x3f5db3d7, v35
	v_fmac_f32_e32 v39, 0xbf5db3d7, v35
	v_fma_f32 v35, 2.0, v33, v10
	v_fma_f32 v33, 2.0, v36, v11
	v_add_f32_e32 v36, v38, v29
	v_fmac_f32_e32 v38, 0x3f441b7d, v8
	v_fmac_f32_e32 v38, 0x3e31d0d4, v30
	v_fmac_f32_e32 v38, -0.5, v9
	v_fmac_f32_e32 v38, 0xbf708fb2, v5
	v_mov_b32_e32 v9, 2
	v_sub_f32_e32 v5, v38, v41
	v_lshlrev_b32_sdwa v9, v9, v31 dst_sel:DWORD dst_unused:UNUSED_PAD src0_sel:DWORD src1_sel:BYTE_0
	v_fma_f32 v12, 2.0, v43, v39
	v_fma_f32 v8, 2.0, v41, v5
	v_add3_u32 v29, 0, v7, v9
	v_add_u32_e32 v30, 0x600, v32
	ds_write2_b32 v29, v36, v10 offset1:17
	ds_write2_b32 v29, v11, v39 offset0:34 offset1:51
	ds_write2_b32 v29, v5, v8 offset0:68 offset1:85
	;; [unrolled: 1-line block ×3, first 2 shown]
	ds_write_b32 v29, v35 offset:544
	s_waitcnt lgkmcnt(0)
	s_barrier
	ds_read2_b32 v[11:12], v32 offset1:102
	ds_read2_b32 v[7:8], v30 offset0:75 offset1:177
	ds_read2_b32 v[9:10], v1 offset0:76 offset1:178
	;; [unrolled: 1-line block ×3, first 2 shown]
	s_and_saveexec_b64 s[2:3], s[0:1]
	s_cbranch_execz .LBB0_17
; %bb.16:
	ds_read_b32 v35, v32 offset:1632
	ds_read_b32 v46, v32 offset:3468
.LBB0_17:
	s_or_b64 exec, exec, s[2:3]
	v_add_f32_e32 v1, v23, v28
	v_sub_f32_e32 v16, v16, v22
	v_sub_f32_e32 v15, v15, v17
	v_mov_b32_e32 v17, v4
	v_add_f32_e32 v23, v24, v27
	v_sub_f32_e32 v18, v18, v21
	v_sub_f32_e32 v19, v19, v20
	v_mul_f32_e32 v20, 0x3f248dbb, v16
	v_fmac_f32_e32 v17, 0x3f441b7d, v1
	v_add_f32_e32 v24, v25, v26
	v_fmac_f32_e32 v20, 0x3f7c1c5c, v18
	v_fmac_f32_e32 v17, 0x3e31d0d4, v23
	;; [unrolled: 1-line block ×3, first 2 shown]
	v_fmac_f32_e32 v17, -0.5, v24
	v_add_f32_e32 v21, v13, v14
	v_fmac_f32_e32 v20, 0x3eaf1d44, v15
	v_fmac_f32_e32 v17, 0xbf708fb2, v21
	v_add_f32_e32 v17, v20, v17
	v_fma_f32 v36, -2.0, v20, v17
	v_mul_f32_e32 v20, 0xbf248dbb, v15
	v_add_f32_e32 v25, v15, v16
	v_mul_f32_e32 v15, 0x3f7c1c5c, v15
	v_fma_f32 v15, v18, s4, -v15
	v_add_f32_e32 v28, v23, v1
	v_fmac_f32_e32 v15, 0x3f5db3d7, v19
	v_fmac_f32_e32 v20, 0x3f7c1c5c, v16
	;; [unrolled: 1-line block ×3, first 2 shown]
	v_add_f32_e32 v16, v24, v28
	v_add_f32_e32 v13, v13, v16
	v_mov_b32_e32 v22, v4
	v_add_f32_e32 v13, v14, v13
	v_fmac_f32_e32 v22, 0x3f441b7d, v21
	v_add_f32_e32 v27, v4, v24
	v_add_f32_e32 v13, v4, v13
	v_fmac_f32_e32 v4, 0x3f441b7d, v23
	v_fmac_f32_e32 v22, 0x3e31d0d4, v1
	;; [unrolled: 1-line block ×4, first 2 shown]
	v_fmac_f32_e32 v22, -0.5, v24
	v_add_f32_e32 v31, v21, v28
	v_fmac_f32_e32 v4, -0.5, v24
	v_fmac_f32_e32 v20, 0x3eaf1d44, v18
	v_fmac_f32_e32 v22, 0xbf708fb2, v23
	v_sub_f32_e32 v25, v25, v18
	v_fmac_f32_e32 v27, -0.5, v31
	v_fmac_f32_e32 v4, 0xbf708fb2, v1
	v_add_f32_e32 v22, v20, v22
	v_mul_f32_e32 v26, 0x3f5db3d7, v25
	v_fmac_f32_e32 v27, 0x3f5db3d7, v25
	v_add_f32_e32 v1, v15, v4
	v_fma_f32 v20, -2.0, v20, v22
	v_fma_f32 v25, -2.0, v26, v27
	;; [unrolled: 1-line block ×3, first 2 shown]
	s_waitcnt lgkmcnt(0)
	s_barrier
	ds_write2_b32 v29, v13, v17 offset1:17
	ds_write2_b32 v29, v22, v27 offset0:34 offset1:51
	ds_write2_b32 v29, v1, v4 offset0:68 offset1:85
	;; [unrolled: 1-line block ×3, first 2 shown]
	ds_write_b32 v29, v36 offset:544
	v_add_u32_e32 v1, 0x200, v32
	s_waitcnt lgkmcnt(0)
	s_barrier
	ds_read2_b32 v[15:16], v32 offset1:102
	ds_read2_b32 v[17:18], v30 offset0:75 offset1:177
	ds_read2_b32 v[13:14], v1 offset0:76 offset1:178
	v_add_u32_e32 v1, 0x800, v32
	ds_read2_b32 v[19:20], v1 offset0:151 offset1:253
	s_and_saveexec_b64 s[2:3], s[0:1]
	s_cbranch_execz .LBB0_19
; %bb.18:
	ds_read_b32 v36, v32 offset:1632
	ds_read_b32 v34, v32 offset:3468
.LBB0_19:
	s_or_b64 exec, exec, s[2:3]
	v_mov_b32_e32 v1, 0
	v_add_u32_e32 v31, 0x66, v0
	v_lshlrev_b64 v[21:22], 3, v[0:1]
	v_subrev_u32_e32 v25, 51, v0
	v_cndmask_b32_e64 v38, v25, v31, s[0:1]
	v_mov_b32_e32 v39, v1
	v_mov_b32_e32 v4, s9
	v_add_co_u32_e64 v23, s[2:3], s8, v21
	v_lshlrev_b64 v[25:26], 3, v[38:39]
	v_addc_co_u32_e64 v24, s[2:3], v4, v22, s[2:3]
	v_add_co_u32_e64 v39, s[2:3], s8, v25
	v_addc_co_u32_e64 v40, s[2:3], v4, v26, s[2:3]
	v_add_u32_e32 v33, 0x132, v0
	s_movk_i32 s2, 0x358b
	v_mul_u32_u24_sdwa v1, v33, s2 dst_sel:DWORD dst_unused:UNUSED_PAD src0_sel:WORD_0 src1_sel:DWORD
	v_lshrrev_b32_e32 v1, 21, v1
	v_mul_lo_u16_e32 v1, 0x99, v1
	v_sub_u16_e32 v4, v33, v1
	v_lshlrev_b32_e32 v1, 3, v4
	global_load_dwordx2 v[21:22], v[23:24], off offset:1088
	global_load_dwordx2 v[27:28], v[39:40], off offset:1088
	global_load_dwordx2 v[25:26], v1, s[8:9] offset:1088
	global_load_dwordx2 v[29:30], v[23:24], off offset:1496
	v_add_u32_e32 v1, 0x198, v0
	v_mul_u32_u24_sdwa v23, v1, s2 dst_sel:DWORD dst_unused:UNUSED_PAD src0_sel:WORD_0 src1_sel:DWORD
	v_lshrrev_b32_e32 v23, 21, v23
	v_mul_lo_u16_e32 v23, 0x99, v23
	v_sub_u16_e32 v40, v1, v23
	v_lshlrev_b32_e32 v23, 3, v40
	global_load_dwordx2 v[23:24], v23, s[8:9] offset:1088
	v_mov_b32_e32 v39, 0x4c8
	v_cmp_lt_u32_e64 s[2:3], 50, v0
	v_cndmask_b32_e64 v39, 0, v39, s[2:3]
	v_lshlrev_b32_e32 v38, 2, v38
	v_add_u32_e32 v37, 0x400, v32
	v_add3_u32 v38, 0, v39, v38
	v_lshl_add_u32 v39, v4, 2, 0
	v_lshl_add_u32 v40, v40, 2, 0
	s_waitcnt vmcnt(0) lgkmcnt(0)
	s_barrier
	v_add_u32_e32 v4, 0x800, v39
	v_mul_f32_e32 v42, v18, v28
	v_mul_f32_e32 v41, v17, v22
	v_fmac_f32_e32 v41, v7, v21
	v_fmac_f32_e32 v42, v8, v27
	v_mul_f32_e32 v43, v19, v30
	v_mul_f32_e32 v44, v20, v26
	v_sub_f32_e32 v41, v11, v41
	v_fmac_f32_e32 v43, v5, v29
	v_fmac_f32_e32 v44, v6, v25
	v_sub_f32_e32 v42, v12, v42
	v_fma_f32 v11, v11, 2.0, -v41
	v_fma_f32 v12, v12, 2.0, -v42
	v_sub_f32_e32 v43, v9, v43
	v_sub_f32_e32 v44, v10, v44
	ds_write2_b32 v32, v11, v41 offset1:153
	v_fma_f32 v9, v9, 2.0, -v43
	v_fma_f32 v10, v10, 2.0, -v44
	ds_write2_b32 v38, v12, v42 offset1:153
	ds_write2_b32 v37, v9, v43 offset0:101 offset1:254
	ds_write2_b32 v4, v10, v44 offset0:100 offset1:253
	s_and_saveexec_b64 s[2:3], s[0:1]
	s_cbranch_execz .LBB0_21
; %bb.20:
	v_mul_f32_e32 v4, v34, v24
	v_fmac_f32_e32 v4, v46, v23
	v_sub_f32_e32 v4, v35, v4
	v_fma_f32 v9, v35, 2.0, -v4
	v_add_u32_e32 v10, 0x800, v40
	ds_write2_b32 v10, v9, v4 offset0:100 offset1:253
.LBB0_21:
	s_or_b64 exec, exec, s[2:3]
	v_mul_f32_e32 v6, v6, v26
	v_mul_f32_e32 v4, v7, v22
	;; [unrolled: 1-line block ×4, first 2 shown]
	v_fma_f32 v6, v20, v25, -v6
	v_fma_f32 v4, v17, v21, -v4
	;; [unrolled: 1-line block ×4, first 2 shown]
	v_sub_f32_e32 v20, v14, v6
	v_add_u32_e32 v6, 0x200, v32
	v_add_u32_e32 v8, 0x800, v32
	v_sub_f32_e32 v17, v15, v4
	v_sub_f32_e32 v18, v16, v7
	;; [unrolled: 1-line block ×3, first 2 shown]
	s_waitcnt lgkmcnt(0)
	s_barrier
	ds_read2_b32 v[4:5], v32 offset1:102
	ds_read2_b32 v[6:7], v6 offset0:76 offset1:178
	ds_read2_b32 v[8:9], v8 offset0:100 offset1:202
	;; [unrolled: 1-line block ×3, first 2 shown]
	ds_read_b32 v12, v32 offset:3264
	v_fma_f32 v15, v15, 2.0, -v17
	v_fma_f32 v13, v13, 2.0, -v19
	;; [unrolled: 1-line block ×4, first 2 shown]
	s_waitcnt lgkmcnt(0)
	s_barrier
	ds_write2_b32 v32, v15, v17 offset1:153
	ds_write2_b32 v38, v16, v18 offset1:153
	ds_write2_b32 v37, v13, v19 offset0:101 offset1:254
	v_add_u32_e32 v13, 0x800, v39
	ds_write2_b32 v13, v14, v20 offset0:100 offset1:253
	s_and_saveexec_b64 s[2:3], s[0:1]
	s_cbranch_execz .LBB0_23
; %bb.22:
	v_mul_f32_e32 v13, v46, v24
	v_fma_f32 v13, v34, v23, -v13
	v_sub_f32_e32 v13, v36, v13
	v_fma_f32 v14, v36, 2.0, -v13
	v_add_u32_e32 v15, 0x800, v40
	ds_write2_b32 v15, v14, v13 offset0:100 offset1:253
.LBB0_23:
	s_or_b64 exec, exec, s[2:3]
	s_waitcnt lgkmcnt(0)
	s_barrier
	s_and_saveexec_b64 s[0:1], vcc
	s_cbranch_execz .LBB0_25
; %bb.24:
	v_add_u32_e32 v36, 0xcc, v0
	v_lshlrev_b32_e32 v21, 1, v36
	v_mov_b32_e32 v22, 0
	v_lshlrev_b64 v[13:14], 3, v[21:22]
	v_lshlrev_b32_e32 v21, 1, v31
	v_mov_b32_e32 v23, s9
	v_add_co_u32_e32 v13, vcc, s8, v13
	v_lshlrev_b64 v[17:18], 3, v[21:22]
	v_addc_co_u32_e32 v14, vcc, v23, v14, vcc
	v_add_co_u32_e32 v17, vcc, s8, v17
	v_lshlrev_b32_e32 v21, 1, v0
	global_load_dwordx4 v[13:16], v[13:14], off offset:2312
	v_addc_co_u32_e32 v18, vcc, v23, v18, vcc
	global_load_dwordx4 v[17:20], v[17:18], off offset:2312
	v_lshlrev_b64 v[21:22], 3, v[21:22]
	v_add_u32_e32 v29, 0x200, v32
	v_add_co_u32_e32 v21, vcc, s8, v21
	v_addc_co_u32_e32 v22, vcc, v23, v22, vcc
	global_load_dwordx4 v[21:24], v[21:22], off offset:2312
	v_add_u32_e32 v27, 0x400, v32
	ds_read_b32 v37, v32 offset:3264
	ds_read2_b32 v[25:26], v32 offset1:102
	v_add_u32_e32 v32, 0x800, v32
	ds_read2_b32 v[27:28], v27 offset0:152 offset1:254
	ds_read2_b32 v[29:30], v29 offset0:76 offset1:178
	;; [unrolled: 1-line block ×3, first 2 shown]
	s_movk_i32 s2, 0x264
	s_waitcnt vmcnt(2)
	v_mul_f32_e32 v32, v11, v14
	v_mul_f32_e32 v38, v12, v16
	s_waitcnt lgkmcnt(2)
	v_mul_f32_e32 v14, v28, v14
	v_mul_f32_e32 v16, v37, v16
	v_fma_f32 v28, v28, v13, -v32
	v_fma_f32 v32, v37, v15, -v38
	v_fmac_f32_e32 v14, v11, v13
	v_fmac_f32_e32 v16, v12, v15
	s_waitcnt vmcnt(1)
	v_mul_f32_e32 v13, v27, v18
	s_waitcnt lgkmcnt(0)
	v_mul_f32_e32 v15, v35, v20
	v_mul_f32_e32 v11, v10, v18
	v_mul_f32_e32 v12, v9, v20
	v_sub_f32_e32 v20, v14, v16
	v_add_f32_e32 v37, v14, v16
	v_add_f32_e32 v14, v6, v14
	v_fmac_f32_e32 v13, v10, v17
	v_fmac_f32_e32 v15, v9, v19
	v_add_f32_e32 v18, v28, v32
	v_fma_f32 v27, v27, v17, -v11
	v_fma_f32 v35, v35, v19, -v12
	v_add_f32_e32 v11, v14, v16
	v_add_f32_e32 v16, v13, v15
	v_sub_f32_e32 v38, v28, v32
	v_add_f32_e32 v28, v29, v28
	s_waitcnt vmcnt(0)
	v_mul_f32_e32 v17, v7, v22
	v_mul_f32_e32 v19, v8, v24
	;; [unrolled: 1-line block ×4, first 2 shown]
	v_fma_f32 v10, -0.5, v18, v29
	v_add_f32_e32 v14, v27, v35
	v_sub_f32_e32 v22, v13, v15
	v_sub_f32_e32 v24, v27, v35
	v_add_f32_e32 v18, v26, v27
	v_add_f32_e32 v27, v5, v13
	v_fma_f32 v13, -0.5, v16, v5
	v_add_f32_e32 v12, v28, v32
	v_fma_f32 v28, v30, v21, -v17
	v_fma_f32 v29, v34, v23, -v19
	v_mov_b32_e32 v17, v13
	v_fmac_f32_e32 v39, v7, v21
	v_fmac_f32_e32 v40, v8, v23
	v_mov_b32_e32 v7, v10
	v_add_f32_e32 v5, v28, v29
	v_fmac_f32_e32 v13, 0xbf5db3d7, v24
	v_fmac_f32_e32 v17, 0x3f5db3d7, v24
	v_mad_u64_u32 v[23:24], s[0:1], s12, v0, 0
	v_fmac_f32_e32 v10, 0x3f5db3d7, v20
	v_fmac_f32_e32 v7, 0xbf5db3d7, v20
	v_fma_f32 v20, -0.5, v5, v25
	v_add_f32_e32 v5, v39, v40
	v_fma_f32 v9, -0.5, v37, v6
	v_fma_f32 v14, -0.5, v14, v26
	;; [unrolled: 1-line block ×3, first 2 shown]
	v_mov_b32_e32 v6, v9
	v_add_f32_e32 v16, v18, v35
	v_mov_b32_e32 v18, v14
	v_sub_f32_e32 v5, v28, v29
	v_mov_b32_e32 v21, v19
	v_sub_f32_e32 v8, v39, v40
	v_fmac_f32_e32 v6, 0x3f5db3d7, v38
	v_fmac_f32_e32 v14, 0x3f5db3d7, v22
	v_fmac_f32_e32 v18, 0xbf5db3d7, v22
	v_mov_b32_e32 v22, v20
	v_fmac_f32_e32 v21, 0x3f5db3d7, v5
	v_fmac_f32_e32 v19, 0xbf5db3d7, v5
	v_mov_b32_e32 v5, v24
	v_fmac_f32_e32 v22, 0xbf5db3d7, v8
	v_fmac_f32_e32 v20, 0x3f5db3d7, v8
	v_add_f32_e32 v8, v25, v28
	v_mad_u64_u32 v[24:25], s[0:1], s13, v0, v[5:6]
	v_add_f32_e32 v15, v27, v15
	v_add_f32_e32 v5, v8, v29
	v_mov_b32_e32 v8, s15
	v_add_co_u32_e32 v27, vcc, s14, v2
	v_addc_co_u32_e32 v28, vcc, v8, v3, vcc
	v_lshlrev_b64 v[2:3], 3, v[23:24]
	v_mad_u64_u32 v[23:24], s[0:1], s12, v33, 0
	v_fmac_f32_e32 v9, 0xbf5db3d7, v38
	v_add_f32_e32 v4, v4, v39
	v_mov_b32_e32 v8, v24
	v_mad_u64_u32 v[24:25], s[0:1], s13, v33, v[8:9]
	v_add_u32_e32 v8, 0x264, v0
	v_mad_u64_u32 v[25:26], s[0:1], s12, v8, 0
	v_add_co_u32_e32 v2, vcc, v27, v2
	v_add_f32_e32 v4, v4, v40
	v_addc_co_u32_e32 v3, vcc, v28, v3, vcc
	global_store_dwordx2 v[2:3], v[4:5], off
	v_mov_b32_e32 v4, v26
	v_mad_u64_u32 v[4:5], s[0:1], s13, v8, v[4:5]
	v_lshlrev_b64 v[2:3], 3, v[23:24]
	v_mad_u64_u32 v[23:24], s[0:1], s12, v1, 0
	v_mov_b32_e32 v26, v4
	v_mad_u64_u32 v[4:5], s[0:1], s12, v31, 0
	v_add_co_u32_e32 v2, vcc, v27, v2
	v_addc_co_u32_e32 v3, vcc, v28, v3, vcc
	global_store_dwordx2 v[2:3], v[19:20], off
	v_mad_u64_u32 v[19:20], s[0:1], s13, v31, v[5:6]
	v_lshlrev_b64 v[2:3], 3, v[25:26]
	v_add_co_u32_e32 v2, vcc, v27, v2
	v_addc_co_u32_e32 v3, vcc, v28, v3, vcc
	v_mov_b32_e32 v5, v19
	global_store_dwordx2 v[2:3], v[21:22], off
	v_lshlrev_b64 v[2:3], 3, v[4:5]
	v_mov_b32_e32 v4, v24
	v_mad_u64_u32 v[4:5], s[0:1], s13, v1, v[4:5]
	v_add_co_u32_e32 v1, vcc, v27, v2
	v_add_u32_e32 v5, 0x2ca, v0
	v_addc_co_u32_e32 v2, vcc, v28, v3, vcc
	v_mov_b32_e32 v24, v4
	v_mad_u64_u32 v[3:4], s[0:1], s12, v5, 0
	s_mov_b32 s0, 0xd62b80d7
	global_store_dwordx2 v[1:2], v[15:16], off
	v_lshlrev_b64 v[1:2], 3, v[23:24]
	v_mul_hi_u32 v8, v36, s0
	v_add_co_u32_e32 v0, vcc, v27, v1
	v_addc_co_u32_e32 v1, vcc, v28, v2, vcc
	v_mov_b32_e32 v2, v4
	v_mad_u64_u32 v[4:5], s[0:1], s13, v5, v[2:3]
	v_lshrrev_b32_e32 v2, 8, v8
	v_mad_u32_u24 v5, v2, s2, v36
	v_mad_u64_u32 v[15:16], s[0:1], s12, v5, 0
	global_store_dwordx2 v[0:1], v[13:14], off
	v_lshlrev_b64 v[0:1], 3, v[3:4]
	v_mov_b32_e32 v2, v16
	v_mad_u64_u32 v[2:3], s[0:1], s13, v5, v[2:3]
	v_add_u32_e32 v4, 0x132, v5
	v_add_co_u32_e32 v0, vcc, v27, v0
	v_mov_b32_e32 v16, v2
	v_mad_u64_u32 v[2:3], s[0:1], s12, v4, 0
	v_addc_co_u32_e32 v1, vcc, v28, v1, vcc
	v_mad_u64_u32 v[3:4], s[0:1], s13, v4, v[3:4]
	v_add_u32_e32 v8, 0x264, v5
	global_store_dwordx2 v[0:1], v[17:18], off
	v_lshlrev_b64 v[0:1], 3, v[15:16]
	v_mad_u64_u32 v[4:5], s[0:1], s12, v8, 0
	v_add_co_u32_e32 v0, vcc, v27, v0
	v_addc_co_u32_e32 v1, vcc, v28, v1, vcc
	global_store_dwordx2 v[0:1], v[11:12], off
	v_lshlrev_b64 v[0:1], 3, v[2:3]
	v_mov_b32_e32 v2, v5
	v_mad_u64_u32 v[2:3], s[0:1], s13, v8, v[2:3]
	v_add_co_u32_e32 v0, vcc, v27, v0
	v_addc_co_u32_e32 v1, vcc, v28, v1, vcc
	v_mov_b32_e32 v5, v2
	global_store_dwordx2 v[0:1], v[9:10], off
	v_lshlrev_b64 v[0:1], 3, v[4:5]
	v_add_co_u32_e32 v0, vcc, v27, v0
	v_addc_co_u32_e32 v1, vcc, v28, v1, vcc
	global_store_dwordx2 v[0:1], v[6:7], off
.LBB0_25:
	s_endpgm
	.section	.rodata,"a",@progbits
	.p2align	6, 0x0
	.amdhsa_kernel fft_rtc_back_len918_factors_17_9_2_3_wgs_102_tpt_102_halfLds_sp_ip_CI_sbrr_dirReg
		.amdhsa_group_segment_fixed_size 0
		.amdhsa_private_segment_fixed_size 0
		.amdhsa_kernarg_size 88
		.amdhsa_user_sgpr_count 6
		.amdhsa_user_sgpr_private_segment_buffer 1
		.amdhsa_user_sgpr_dispatch_ptr 0
		.amdhsa_user_sgpr_queue_ptr 0
		.amdhsa_user_sgpr_kernarg_segment_ptr 1
		.amdhsa_user_sgpr_dispatch_id 0
		.amdhsa_user_sgpr_flat_scratch_init 0
		.amdhsa_user_sgpr_private_segment_size 0
		.amdhsa_uses_dynamic_stack 0
		.amdhsa_system_sgpr_private_segment_wavefront_offset 0
		.amdhsa_system_sgpr_workgroup_id_x 1
		.amdhsa_system_sgpr_workgroup_id_y 0
		.amdhsa_system_sgpr_workgroup_id_z 0
		.amdhsa_system_sgpr_workgroup_info 0
		.amdhsa_system_vgpr_workitem_id 0
		.amdhsa_next_free_vgpr 82
		.amdhsa_next_free_sgpr 24
		.amdhsa_reserve_vcc 1
		.amdhsa_reserve_flat_scratch 0
		.amdhsa_float_round_mode_32 0
		.amdhsa_float_round_mode_16_64 0
		.amdhsa_float_denorm_mode_32 3
		.amdhsa_float_denorm_mode_16_64 3
		.amdhsa_dx10_clamp 1
		.amdhsa_ieee_mode 1
		.amdhsa_fp16_overflow 0
		.amdhsa_exception_fp_ieee_invalid_op 0
		.amdhsa_exception_fp_denorm_src 0
		.amdhsa_exception_fp_ieee_div_zero 0
		.amdhsa_exception_fp_ieee_overflow 0
		.amdhsa_exception_fp_ieee_underflow 0
		.amdhsa_exception_fp_ieee_inexact 0
		.amdhsa_exception_int_div_zero 0
	.end_amdhsa_kernel
	.text
.Lfunc_end0:
	.size	fft_rtc_back_len918_factors_17_9_2_3_wgs_102_tpt_102_halfLds_sp_ip_CI_sbrr_dirReg, .Lfunc_end0-fft_rtc_back_len918_factors_17_9_2_3_wgs_102_tpt_102_halfLds_sp_ip_CI_sbrr_dirReg
                                        ; -- End function
	.section	.AMDGPU.csdata,"",@progbits
; Kernel info:
; codeLenInByte = 10276
; NumSgprs: 28
; NumVgprs: 82
; ScratchSize: 0
; MemoryBound: 0
; FloatMode: 240
; IeeeMode: 1
; LDSByteSize: 0 bytes/workgroup (compile time only)
; SGPRBlocks: 3
; VGPRBlocks: 20
; NumSGPRsForWavesPerEU: 28
; NumVGPRsForWavesPerEU: 82
; Occupancy: 3
; WaveLimiterHint : 1
; COMPUTE_PGM_RSRC2:SCRATCH_EN: 0
; COMPUTE_PGM_RSRC2:USER_SGPR: 6
; COMPUTE_PGM_RSRC2:TRAP_HANDLER: 0
; COMPUTE_PGM_RSRC2:TGID_X_EN: 1
; COMPUTE_PGM_RSRC2:TGID_Y_EN: 0
; COMPUTE_PGM_RSRC2:TGID_Z_EN: 0
; COMPUTE_PGM_RSRC2:TIDIG_COMP_CNT: 0
	.type	__hip_cuid_9d06895361fdbb35,@object ; @__hip_cuid_9d06895361fdbb35
	.section	.bss,"aw",@nobits
	.globl	__hip_cuid_9d06895361fdbb35
__hip_cuid_9d06895361fdbb35:
	.byte	0                               ; 0x0
	.size	__hip_cuid_9d06895361fdbb35, 1

	.ident	"AMD clang version 19.0.0git (https://github.com/RadeonOpenCompute/llvm-project roc-6.4.0 25133 c7fe45cf4b819c5991fe208aaa96edf142730f1d)"
	.section	".note.GNU-stack","",@progbits
	.addrsig
	.addrsig_sym __hip_cuid_9d06895361fdbb35
	.amdgpu_metadata
---
amdhsa.kernels:
  - .args:
      - .actual_access:  read_only
        .address_space:  global
        .offset:         0
        .size:           8
        .value_kind:     global_buffer
      - .offset:         8
        .size:           8
        .value_kind:     by_value
      - .actual_access:  read_only
        .address_space:  global
        .offset:         16
        .size:           8
        .value_kind:     global_buffer
      - .actual_access:  read_only
        .address_space:  global
        .offset:         24
        .size:           8
        .value_kind:     global_buffer
      - .offset:         32
        .size:           8
        .value_kind:     by_value
      - .actual_access:  read_only
        .address_space:  global
        .offset:         40
        .size:           8
        .value_kind:     global_buffer
      - .actual_access:  read_only
        .address_space:  global
        .offset:         48
        .size:           8
        .value_kind:     global_buffer
      - .offset:         56
        .size:           4
        .value_kind:     by_value
      - .actual_access:  read_only
        .address_space:  global
        .offset:         64
        .size:           8
        .value_kind:     global_buffer
      - .actual_access:  read_only
        .address_space:  global
        .offset:         72
        .size:           8
        .value_kind:     global_buffer
      - .address_space:  global
        .offset:         80
        .size:           8
        .value_kind:     global_buffer
    .group_segment_fixed_size: 0
    .kernarg_segment_align: 8
    .kernarg_segment_size: 88
    .language:       OpenCL C
    .language_version:
      - 2
      - 0
    .max_flat_workgroup_size: 102
    .name:           fft_rtc_back_len918_factors_17_9_2_3_wgs_102_tpt_102_halfLds_sp_ip_CI_sbrr_dirReg
    .private_segment_fixed_size: 0
    .sgpr_count:     28
    .sgpr_spill_count: 0
    .symbol:         fft_rtc_back_len918_factors_17_9_2_3_wgs_102_tpt_102_halfLds_sp_ip_CI_sbrr_dirReg.kd
    .uniform_work_group_size: 1
    .uses_dynamic_stack: false
    .vgpr_count:     82
    .vgpr_spill_count: 0
    .wavefront_size: 64
amdhsa.target:   amdgcn-amd-amdhsa--gfx906
amdhsa.version:
  - 1
  - 2
...

	.end_amdgpu_metadata
